;; amdgpu-corpus repo=ROCm/rocFFT kind=compiled arch=gfx906 opt=O3
	.text
	.amdgcn_target "amdgcn-amd-amdhsa--gfx906"
	.amdhsa_code_object_version 6
	.protected	fft_rtc_back_len343_factors_7_7_7_wgs_196_tpt_49_dim2_dp_ip_CI_sbcc_twdbase6_3step_dirReg ; -- Begin function fft_rtc_back_len343_factors_7_7_7_wgs_196_tpt_49_dim2_dp_ip_CI_sbcc_twdbase6_3step_dirReg
	.globl	fft_rtc_back_len343_factors_7_7_7_wgs_196_tpt_49_dim2_dp_ip_CI_sbcc_twdbase6_3step_dirReg
	.p2align	8
	.type	fft_rtc_back_len343_factors_7_7_7_wgs_196_tpt_49_dim2_dp_ip_CI_sbcc_twdbase6_3step_dirReg,@function
fft_rtc_back_len343_factors_7_7_7_wgs_196_tpt_49_dim2_dp_ip_CI_sbcc_twdbase6_3step_dirReg: ; @fft_rtc_back_len343_factors_7_7_7_wgs_196_tpt_49_dim2_dp_ip_CI_sbcc_twdbase6_3step_dirReg
; %bb.0:
	s_load_dwordx4 s[0:3], s[4:5], 0x10
	s_movk_i32 s7, 0xc0
	v_cmp_gt_u32_e32 vcc, s7, v0
	s_and_saveexec_b64 s[8:9], vcc
	s_cbranch_execz .LBB0_2
; %bb.1:
	s_load_dwordx2 s[10:11], s[4:5], 0x8
	v_lshlrev_b32_e32 v5, 4, v0
	s_waitcnt lgkmcnt(0)
	global_load_dwordx4 v[1:4], v5, s[10:11]
	v_add_u32_e32 v5, 0, v5
	v_add_u32_e32 v5, 0x55c0, v5
	s_waitcnt vmcnt(0)
	ds_write2_b64 v5, v[1:2], v[3:4] offset1:1
.LBB0_2:
	s_or_b64 exec, exec, s[8:9]
	s_waitcnt lgkmcnt(0)
	s_load_dwordx2 s[12:13], s[0:1], 0x8
	s_load_dwordx2 s[10:11], s[4:5], 0x50
	;; [unrolled: 1-line block ×4, first 2 shown]
	s_mov_b32 s7, 0
	s_waitcnt lgkmcnt(0)
	s_add_u32 s0, s12, -1
	s_addc_u32 s1, s13, -1
	s_lshr_b64 s[0:1], s[0:1], 2
	s_add_u32 s0, s0, 1
	s_addc_u32 s1, s1, 0
	v_mov_b32_e32 v2, s1
	v_mov_b32_e32 v1, s0
	v_cmp_lt_u64_e32 vcc, s[6:7], v[1:2]
	s_mov_b64 s[14:15], 0
	s_cbranch_vccnz .LBB0_4
; %bb.3:
	v_cvt_f32_u32_e32 v1, s0
	s_sub_i32 s4, 0, s0
	v_rcp_iflag_f32_e32 v1, v1
	v_mul_f32_e32 v1, 0x4f7ffffe, v1
	v_cvt_u32_f32_e32 v1, v1
	v_readfirstlane_b32 s5, v1
	s_mul_i32 s4, s4, s5
	s_mul_hi_u32 s4, s5, s4
	s_add_i32 s5, s5, s4
	s_mul_hi_u32 s4, s6, s5
	s_mul_i32 s7, s4, s0
	s_sub_i32 s7, s6, s7
	s_add_i32 s5, s4, 1
	s_sub_i32 s14, s7, s0
	s_cmp_ge_u32 s7, s0
	s_cselect_b32 s4, s5, s4
	s_cselect_b32 s7, s14, s7
	s_add_i32 s5, s4, 1
	s_cmp_ge_u32 s7, s0
	s_cselect_b32 s14, s5, s4
.LBB0_4:
	s_mul_i32 s1, s14, s1
	s_mul_hi_u32 s4, s14, s0
	s_add_i32 s4, s4, s1
	s_mul_i32 s0, s14, s0
	s_sub_u32 s0, s6, s0
	s_subb_u32 s1, 0, s4
	s_load_dwordx4 s[4:7], s[2:3], 0x8
	v_mov_b32_e32 v1, s0
	s_lshl_b64 s[16:17], s[0:1], 2
	v_alignbit_b32 v1, s1, v1, 30
	v_readfirstlane_b32 s0, v1
	s_waitcnt lgkmcnt(0)
	s_mul_i32 s1, s16, s5
	s_mul_hi_u32 s2, s16, s4
	s_mul_i32 s0, s0, s4
	s_add_i32 s1, s2, s1
	s_mul_i32 s2, s7, s14
	s_mul_hi_u32 s3, s6, s14
	s_add_i32 s1, s1, s0
	s_mul_i32 s0, s16, s4
	s_add_i32 s3, s3, s2
	s_mul_i32 s2, s6, s14
	s_add_u32 s2, s2, s0
	s_addc_u32 s3, s3, s1
	v_and_b32_e32 v31, 3, v0
	s_add_u32 s0, s16, 4
	v_mov_b32_e32 v1, s12
	v_or_b32_e32 v29, s16, v31
	v_mov_b32_e32 v30, s17
	s_addc_u32 s1, s17, 0
	v_mov_b32_e32 v2, s13
	v_cmp_le_u64_e32 vcc, s[0:1], v[1:2]
	v_cmp_gt_u64_e64 s[0:1], s[12:13], v[29:30]
	v_lshrrev_b32_e32 v30, 2, v0
	s_or_b64 s[30:31], vcc, s[0:1]
                                        ; implicit-def: $vgpr23_vgpr24
                                        ; implicit-def: $vgpr15_vgpr16
                                        ; implicit-def: $vgpr7_vgpr8
                                        ; implicit-def: $vgpr11_vgpr12
                                        ; implicit-def: $vgpr19_vgpr20
                                        ; implicit-def: $vgpr27_vgpr28
                                        ; implicit-def: $vgpr3_vgpr4
	s_and_saveexec_b64 s[0:1], s[30:31]
	s_cbranch_execz .LBB0_6
; %bb.5:
	v_mad_u64_u32 v[1:2], s[6:7], s4, v31, 0
	v_mad_u64_u32 v[3:4], s[6:7], s8, v30, 0
	v_add_u32_e32 v8, 49, v30
	v_mad_u64_u32 v[5:6], s[6:7], s5, v31, v[2:3]
	v_mov_b32_e32 v2, v4
	v_mad_u64_u32 v[6:7], s[6:7], s9, v30, v[2:3]
	s_lshl_b64 s[6:7], s[2:3], 4
	s_add_u32 s12, s10, s6
	s_addc_u32 s6, s11, s7
	v_mov_b32_e32 v2, v5
	v_mov_b32_e32 v4, v6
	;; [unrolled: 1-line block ×3, first 2 shown]
	v_mad_u64_u32 v[5:6], s[6:7], s8, v8, 0
	v_lshlrev_b64 v[1:2], 4, v[1:2]
	v_add_co_u32_e32 v9, vcc, s12, v1
	v_addc_co_u32_e32 v10, vcc, v7, v2, vcc
	v_lshlrev_b64 v[1:2], 4, v[3:4]
	v_mov_b32_e32 v3, v6
	v_mad_u64_u32 v[3:4], s[6:7], s9, v8, v[3:4]
	v_add_u32_e32 v4, 0x62, v30
	v_mad_u64_u32 v[7:8], s[6:7], s8, v4, 0
	v_add_co_u32_e32 v32, vcc, v9, v1
	v_mov_b32_e32 v6, v3
	v_mov_b32_e32 v3, v8
	v_addc_co_u32_e32 v33, vcc, v10, v2, vcc
	v_lshlrev_b64 v[1:2], 4, v[5:6]
	v_mad_u64_u32 v[3:4], s[6:7], s9, v4, v[3:4]
	v_add_u32_e32 v6, 0x93, v30
	v_mad_u64_u32 v[4:5], s[6:7], s8, v6, 0
	v_add_co_u32_e32 v34, vcc, v9, v1
	v_mov_b32_e32 v8, v3
	v_mov_b32_e32 v3, v5
	v_addc_co_u32_e32 v35, vcc, v10, v2, vcc
	v_lshlrev_b64 v[1:2], 4, v[7:8]
	v_mad_u64_u32 v[5:6], s[6:7], s9, v6, v[3:4]
	v_add_u32_e32 v8, 0xc4, v30
	v_mad_u64_u32 v[6:7], s[6:7], s8, v8, 0
	v_add_co_u32_e32 v36, vcc, v9, v1
	v_mov_b32_e32 v3, v7
	v_addc_co_u32_e32 v37, vcc, v10, v2, vcc
	v_lshlrev_b64 v[1:2], 4, v[4:5]
	v_mad_u64_u32 v[3:4], s[6:7], s9, v8, v[3:4]
	v_add_u32_e32 v8, 0xf5, v30
	v_mad_u64_u32 v[4:5], s[6:7], s8, v8, 0
	v_add_co_u32_e32 v38, vcc, v9, v1
	v_mov_b32_e32 v7, v3
	v_mov_b32_e32 v3, v5
	v_addc_co_u32_e32 v39, vcc, v10, v2, vcc
	v_lshlrev_b64 v[1:2], 4, v[6:7]
	v_mad_u64_u32 v[5:6], s[6:7], s9, v8, v[3:4]
	v_add_u32_e32 v8, 0x126, v30
	v_mad_u64_u32 v[6:7], s[6:7], s8, v8, 0
	v_add_co_u32_e32 v40, vcc, v9, v1
	v_mov_b32_e32 v3, v7
	v_addc_co_u32_e32 v41, vcc, v10, v2, vcc
	v_lshlrev_b64 v[1:2], 4, v[4:5]
	v_mad_u64_u32 v[3:4], s[6:7], s9, v8, v[3:4]
	v_add_co_u32_e32 v42, vcc, v9, v1
	v_mov_b32_e32 v7, v3
	v_addc_co_u32_e32 v43, vcc, v10, v2, vcc
	v_lshlrev_b64 v[1:2], 4, v[6:7]
	v_add_co_u32_e32 v44, vcc, v9, v1
	v_addc_co_u32_e32 v45, vcc, v10, v2, vcc
	global_load_dwordx4 v[1:4], v[32:33], off
	global_load_dwordx4 v[25:28], v[34:35], off
	;; [unrolled: 1-line block ×7, first 2 shown]
.LBB0_6:
	s_or_b64 exec, exec, s[0:1]
	s_waitcnt vmcnt(0)
	v_add_f64 v[32:33], v[21:22], v[25:26]
	v_add_f64 v[34:35], v[23:24], v[27:28]
	v_add_f64 v[21:22], v[25:26], -v[21:22]
	v_add_f64 v[23:24], v[27:28], -v[23:24]
	v_add_f64 v[25:26], v[13:14], v[17:18]
	v_add_f64 v[27:28], v[15:16], v[19:20]
	v_add_f64 v[13:14], v[17:18], -v[13:14]
	v_add_f64 v[15:16], v[19:20], -v[15:16]
	;; [unrolled: 4-line block ×4, first 2 shown]
	v_add_f64 v[32:33], v[32:33], -v[17:18]
	v_add_f64 v[34:35], v[34:35], -v[19:20]
	;; [unrolled: 1-line block ×4, first 2 shown]
	v_add_f64 v[40:41], v[5:6], v[13:14]
	v_add_f64 v[42:43], v[7:8], v[15:16]
	v_add_f64 v[44:45], v[5:6], -v[13:14]
	v_add_f64 v[46:47], v[7:8], -v[15:16]
	v_add_f64 v[9:10], v[17:18], v[9:10]
	v_add_f64 v[11:12], v[19:20], v[11:12]
	v_add_f64 v[13:14], v[13:14], -v[21:22]
	v_add_f64 v[15:16], v[15:16], -v[23:24]
	s_mov_b32 s18, 0x37e14327
	s_mov_b32 s12, 0x36b3c0b5
	;; [unrolled: 1-line block ×7, first 2 shown]
	v_add_f64 v[5:6], v[21:22], -v[5:6]
	v_add_f64 v[7:8], v[23:24], -v[7:8]
	v_add_f64 v[17:18], v[40:41], v[21:22]
	v_add_f64 v[19:20], v[42:43], v[23:24]
	;; [unrolled: 1-line block ×4, first 2 shown]
	v_mul_f64 v[21:22], v[32:33], s[18:19]
	v_mul_f64 v[23:24], v[34:35], s[18:19]
	;; [unrolled: 1-line block ×6, first 2 shown]
	s_mov_b32 s15, 0xbfebfeb5
	v_mul_f64 v[44:45], v[13:14], s[14:15]
	v_mul_f64 v[46:47], v[15:16], s[14:15]
	s_mov_b32 s22, 0xaaaaaaaa
	s_mov_b32 s0, 0x5476071b
	;; [unrolled: 1-line block ×8, first 2 shown]
	v_fma_f64 v[9:10], v[9:10], s[22:23], v[1:2]
	v_fma_f64 v[11:12], v[11:12], s[22:23], v[3:4]
	;; [unrolled: 1-line block ×4, first 2 shown]
	v_fma_f64 v[32:33], v[36:37], s[0:1], -v[32:33]
	v_fma_f64 v[34:35], v[38:39], s[0:1], -v[34:35]
	v_fma_f64 v[21:22], v[36:37], s[16:17], -v[21:22]
	v_fma_f64 v[23:24], v[38:39], s[16:17], -v[23:24]
	v_fma_f64 v[36:37], v[5:6], s[24:25], v[40:41]
	v_fma_f64 v[38:39], v[7:8], s[24:25], v[42:43]
	s_mov_b32 s27, 0x3fd5d0dc
	s_mov_b32 s26, s24
	v_fma_f64 v[5:6], v[5:6], s[26:27], -v[44:45]
	v_fma_f64 v[7:8], v[7:8], s[26:27], -v[46:47]
	;; [unrolled: 1-line block ×4, first 2 shown]
	s_mov_b32 s6, 0x37c3f68c
	s_mov_b32 s7, 0xbfdc38aa
	v_add_f64 v[25:26], v[25:26], v[9:10]
	v_add_f64 v[27:28], v[27:28], v[11:12]
	v_fma_f64 v[38:39], v[19:20], s[6:7], v[38:39]
	v_fma_f64 v[36:37], v[17:18], s[6:7], v[36:37]
	v_add_f64 v[21:22], v[21:22], v[9:10]
	v_add_f64 v[23:24], v[23:24], v[11:12]
	v_fma_f64 v[40:41], v[19:20], s[6:7], v[7:8]
	v_fma_f64 v[42:43], v[17:18], s[6:7], v[5:6]
	;; [unrolled: 4-line block ×3, first 2 shown]
	v_add_f64 v[5:6], v[38:39], v[25:26]
	v_add_f64 v[7:8], v[27:28], -v[36:37]
	v_add_f64 v[9:10], v[40:41], v[21:22]
	v_add_f64 v[11:12], v[23:24], -v[42:43]
	v_add_f64 v[21:22], v[21:22], -v[40:41]
	v_add_f64 v[23:24], v[42:43], v[23:24]
	v_add_f64 v[13:14], v[32:33], -v[19:20]
	v_add_f64 v[15:16], v[44:45], v[34:35]
	v_add_f64 v[17:18], v[19:20], v[32:33]
	v_add_f64 v[19:20], v[34:35], -v[44:45]
	v_add_f64 v[25:26], v[25:26], -v[38:39]
	v_add_f64 v[27:28], v[36:37], v[27:28]
	v_mul_u32_u24_e32 v32, 0x1c0, v30
	v_lshlrev_b32_e32 v64, 4, v31
	v_add3_u32 v32, 0, v32, v64
	ds_write_b128 v32, v[1:4]
	ds_write_b128 v32, v[5:8] offset:64
	ds_write_b128 v32, v[9:12] offset:128
	ds_write_b128 v32, v[13:16] offset:192
	ds_write_b128 v32, v[17:20] offset:256
	ds_write_b128 v32, v[21:24] offset:320
	ds_write_b128 v32, v[25:28] offset:384
	v_mul_lo_u16_e32 v1, 37, v30
	v_mov_b32_e32 v2, 7
	v_mul_lo_u16_sdwa v1, v1, v2 dst_sel:DWORD dst_unused:UNUSED_PAD src0_sel:BYTE_1 src1_sel:DWORD
	v_sub_u16_e32 v1, v30, v1
	v_and_b32_e32 v25, 0xff, v1
	v_mul_u32_u24_e32 v1, 6, v25
	v_lshlrev_b32_e32 v26, 4, v1
	s_waitcnt lgkmcnt(0)
	s_barrier
	global_load_dwordx4 v[1:4], v26, s[28:29]
	global_load_dwordx4 v[5:8], v26, s[28:29] offset:16
	global_load_dwordx4 v[9:12], v26, s[28:29] offset:80
	;; [unrolled: 1-line block ×5, first 2 shown]
	s_movk_i32 s33, 0xfe80
	v_mad_i32_i24 v26, v30, s33, v32
	ds_read_b128 v[32:35], v26 offset:3136
	ds_read_b128 v[36:39], v26
	ds_read_b128 v[40:43], v26 offset:6272
	ds_read_b128 v[44:47], v26 offset:9408
	ds_read_b128 v[48:51], v26 offset:18816
	ds_read_b128 v[52:55], v26 offset:12544
	ds_read_b128 v[56:59], v26 offset:15680
	s_waitcnt vmcnt(0) lgkmcnt(0)
	s_barrier
	v_mul_f64 v[27:28], v[34:35], v[3:4]
	v_mul_f64 v[3:4], v[32:33], v[3:4]
	;; [unrolled: 1-line block ×6, first 2 shown]
	v_fma_f64 v[27:28], v[32:33], v[1:2], v[27:28]
	v_fma_f64 v[1:2], v[34:35], v[1:2], -v[3:4]
	v_fma_f64 v[3:4], v[40:41], v[5:6], v[60:61]
	v_fma_f64 v[5:6], v[42:43], v[5:6], -v[7:8]
	v_mul_f64 v[7:8], v[46:47], v[15:16]
	v_mul_f64 v[15:16], v[44:45], v[15:16]
	;; [unrolled: 1-line block ×6, first 2 shown]
	v_fma_f64 v[40:41], v[48:49], v[9:10], v[62:63]
	v_fma_f64 v[9:10], v[50:51], v[9:10], -v[11:12]
	v_fma_f64 v[7:8], v[44:45], v[13:14], v[7:8]
	v_fma_f64 v[11:12], v[46:47], v[13:14], -v[15:16]
	v_fma_f64 v[13:14], v[56:57], v[17:18], v[32:33]
	v_fma_f64 v[15:16], v[58:59], v[17:18], -v[19:20]
	v_fma_f64 v[17:18], v[52:53], v[21:22], v[34:35]
	v_fma_f64 v[19:20], v[54:55], v[21:22], -v[23:24]
	v_add_f64 v[21:22], v[27:28], v[40:41]
	v_add_f64 v[23:24], v[1:2], v[9:10]
	v_add_f64 v[1:2], v[1:2], -v[9:10]
	v_add_f64 v[27:28], v[27:28], -v[40:41]
	v_add_f64 v[9:10], v[3:4], v[13:14]
	v_add_f64 v[32:33], v[5:6], v[15:16]
	v_add_f64 v[3:4], v[3:4], -v[13:14]
	v_add_f64 v[5:6], v[5:6], -v[15:16]
	;; [unrolled: 4-line block ×4, first 2 shown]
	v_add_f64 v[21:22], v[21:22], -v[13:14]
	v_add_f64 v[23:24], v[23:24], -v[15:16]
	;; [unrolled: 1-line block ×4, first 2 shown]
	v_add_f64 v[42:43], v[7:8], v[3:4]
	v_add_f64 v[44:45], v[11:12], v[5:6]
	v_add_f64 v[46:47], v[7:8], -v[3:4]
	v_add_f64 v[48:49], v[11:12], -v[5:6]
	v_add_f64 v[13:14], v[13:14], v[17:18]
	v_add_f64 v[15:16], v[15:16], v[19:20]
	v_add_f64 v[17:18], v[3:4], -v[27:28]
	v_add_f64 v[5:6], v[5:6], -v[1:2]
	;; [unrolled: 1-line block ×4, first 2 shown]
	v_add_f64 v[19:20], v[42:43], v[27:28]
	v_add_f64 v[27:28], v[44:45], v[1:2]
	;; [unrolled: 1-line block ×4, first 2 shown]
	v_mul_f64 v[21:22], v[21:22], s[18:19]
	v_mul_f64 v[23:24], v[23:24], s[18:19]
	;; [unrolled: 1-line block ×8, first 2 shown]
	v_fma_f64 v[13:14], v[13:14], s[22:23], v[1:2]
	v_fma_f64 v[15:16], v[15:16], s[22:23], v[3:4]
	;; [unrolled: 1-line block ×4, first 2 shown]
	v_fma_f64 v[36:37], v[34:35], s[0:1], -v[36:37]
	v_fma_f64 v[38:39], v[40:41], s[0:1], -v[38:39]
	;; [unrolled: 1-line block ×4, first 2 shown]
	v_fma_f64 v[34:35], v[7:8], s[24:25], v[42:43]
	v_fma_f64 v[40:41], v[11:12], s[24:25], v[44:45]
	v_fma_f64 v[7:8], v[7:8], s[26:27], -v[46:47]
	v_fma_f64 v[11:12], v[11:12], s[26:27], -v[48:49]
	;; [unrolled: 1-line block ×4, first 2 shown]
	v_add_f64 v[42:43], v[9:10], v[13:14]
	v_add_f64 v[44:45], v[32:33], v[15:16]
	v_add_f64 v[32:33], v[36:37], v[13:14]
	v_add_f64 v[36:37], v[38:39], v[15:16]
	v_fma_f64 v[38:39], v[27:28], s[6:7], v[40:41]
	v_fma_f64 v[34:35], v[19:20], s[6:7], v[34:35]
	v_add_f64 v[21:22], v[21:22], v[13:14]
	v_add_f64 v[23:24], v[23:24], v[15:16]
	v_fma_f64 v[40:41], v[27:28], s[6:7], v[11:12]
	v_fma_f64 v[46:47], v[19:20], s[6:7], v[7:8]
	;; [unrolled: 1-line block ×4, first 2 shown]
	v_add_f64 v[5:6], v[38:39], v[42:43]
	v_add_f64 v[7:8], v[44:45], -v[34:35]
	v_add_f64 v[34:35], v[34:35], v[44:45]
	v_add_f64 v[9:10], v[40:41], v[21:22]
	v_add_f64 v[11:12], v[23:24], -v[46:47]
	v_add_f64 v[13:14], v[32:33], -v[27:28]
	v_add_f64 v[15:16], v[19:20], v[36:37]
	v_add_f64 v[17:18], v[27:28], v[32:33]
	v_add_f64 v[19:20], v[36:37], -v[19:20]
	v_mul_u32_u24_e32 v27, 0x925, v0
	v_mov_b32_e32 v28, 49
	v_add_f64 v[21:22], v[21:22], -v[40:41]
	v_add_f64 v[23:24], v[46:47], v[23:24]
	v_mul_lo_u16_sdwa v27, v27, v28 dst_sel:DWORD dst_unused:UNUSED_PAD src0_sel:WORD_1 src1_sel:DWORD
	v_add_f64 v[32:33], v[42:43], -v[38:39]
	v_add_lshl_u32 v25, v27, v25, 6
	v_add3_u32 v25, 0, v25, v64
	ds_write_b128 v25, v[1:4]
	ds_write_b128 v25, v[5:8] offset:448
	ds_write_b128 v25, v[9:12] offset:896
	;; [unrolled: 1-line block ×6, first 2 shown]
	s_waitcnt lgkmcnt(0)
	s_barrier
	s_and_saveexec_b64 s[34:35], s[30:31]
	s_cbranch_execz .LBB0_8
; %bb.7:
	v_mul_lo_u16_e32 v1, 21, v30
	v_lshrrev_b16_e32 v1, 10, v1
	v_mul_lo_u16_e32 v1, 49, v1
	v_sub_u16_e32 v1, v30, v1
	v_and_b32_e32 v25, 0xff, v1
	v_mul_u32_u24_e32 v1, 6, v25
	v_lshlrev_b32_e32 v27, 4, v1
	global_load_dwordx4 v[21:24], v27, s[28:29] offset:704
	global_load_dwordx4 v[17:20], v27, s[28:29] offset:720
	;; [unrolled: 1-line block ×6, first 2 shown]
	v_add_u32_e32 v27, 0x126, v25
	s_movk_i32 s29, 0xffcf
	v_mul_lo_u32 v28, v27, v29
	v_mul_lo_u32 v27, v29, s29
	s_add_i32 s28, 0, 0x55c0
	v_lshrrev_b32_e32 v30, 8, v28
	v_and_b32_e32 v32, 63, v28
	v_lshrrev_b32_e32 v33, 2, v28
	v_add_u32_e32 v28, v28, v27
	v_and_b32_e32 v33, 0x3f0, v33
	v_lshrrev_b32_e32 v34, 8, v28
	v_lshl_add_u32 v32, v32, 4, 0
	v_and_b32_e32 v35, 63, v28
	v_lshrrev_b32_e32 v36, 2, v28
	v_add_u32_e32 v37, s28, v33
	v_and_b32_e32 v38, 0x3f0, v34
	v_lshl_add_u32 v44, v35, 4, 0
	v_and_b32_e32 v40, 0x3f0, v36
	ds_read_b128 v[32:35], v32 offset:21952
	v_add_u32_e32 v41, s28, v38
	ds_read_b128 v[36:39], v37 offset:1024
	v_and_b32_e32 v30, 0x3f0, v30
	v_add_u32_e32 v48, s28, v40
	ds_read_b128 v[40:43], v41 offset:2048
	ds_read_b128 v[44:47], v44 offset:21952
	ds_read_b128 v[48:51], v48 offset:1024
	v_add_u32_e32 v30, s28, v30
	ds_read_b128 v[52:55], v30 offset:2048
	ds_read_b128 v[56:59], v26 offset:9408
	;; [unrolled: 1-line block ×3, first 2 shown]
	s_waitcnt lgkmcnt(6)
	v_mul_f64 v[64:65], v[34:35], v[38:39]
	v_mul_f64 v[38:39], v[32:33], v[38:39]
	s_waitcnt lgkmcnt(3)
	v_mul_f64 v[68:69], v[46:47], v[50:51]
	v_mul_f64 v[50:51], v[44:45], v[50:51]
	v_fma_f64 v[70:71], v[32:33], v[36:37], -v[64:65]
	v_fma_f64 v[72:73], v[34:35], v[36:37], v[38:39]
	ds_read_b128 v[32:35], v26 offset:12544
	ds_read_b128 v[36:39], v26 offset:15680
	;; [unrolled: 1-line block ×3, first 2 shown]
	v_fma_f64 v[68:69], v[44:45], v[48:49], -v[68:69]
	v_fma_f64 v[48:49], v[46:47], v[48:49], v[50:51]
	s_waitcnt vmcnt(5) lgkmcnt(4)
	v_mul_f64 v[74:75], v[58:59], v[23:24]
	v_mul_f64 v[23:24], v[56:57], v[23:24]
	s_waitcnt vmcnt(4) lgkmcnt(2)
	v_mul_f64 v[50:51], v[34:35], v[19:20]
	v_mul_f64 v[76:77], v[32:33], v[19:20]
	v_fma_f64 v[56:57], v[56:57], v[21:22], v[74:75]
	v_fma_f64 v[23:24], v[58:59], v[21:22], -v[23:24]
	s_waitcnt vmcnt(3)
	v_mul_f64 v[58:59], v[62:63], v[3:4]
	v_mul_f64 v[3:4], v[60:61], v[3:4]
	ds_read_b128 v[19:22], v26 offset:3136
	ds_read_b128 v[44:47], v26
	v_fma_f64 v[32:33], v[32:33], v[17:18], v[50:51]
	s_waitcnt vmcnt(2) lgkmcnt(3)
	v_mul_f64 v[50:51], v[38:39], v[15:16]
	v_mul_f64 v[15:16], v[36:37], v[15:16]
	v_fma_f64 v[17:18], v[34:35], v[17:18], -v[76:77]
	v_mul_f64 v[34:35], v[72:73], v[54:55]
	v_fma_f64 v[58:59], v[60:61], v[1:2], v[58:59]
	v_fma_f64 v[1:2], v[62:63], v[1:2], -v[3:4]
	s_waitcnt vmcnt(1) lgkmcnt(1)
	v_mul_f64 v[3:4], v[21:22], v[7:8]
	s_waitcnt vmcnt(0)
	v_mul_f64 v[60:61], v[66:67], v[11:12]
	v_mul_f64 v[7:8], v[19:20], v[7:8]
	;; [unrolled: 1-line block ×3, first 2 shown]
	v_fma_f64 v[36:37], v[36:37], v[13:14], v[50:51]
	v_fma_f64 v[13:14], v[38:39], v[13:14], -v[15:16]
	v_mul_f64 v[15:16], v[70:71], v[54:55]
	v_fma_f64 v[38:39], v[52:53], v[70:71], -v[34:35]
	v_fma_f64 v[3:4], v[19:20], v[5:6], v[3:4]
	v_fma_f64 v[19:20], v[64:65], v[9:10], v[60:61]
	v_fma_f64 v[5:6], v[21:22], v[5:6], -v[7:8]
	v_fma_f64 v[7:8], v[66:67], v[9:10], -v[11:12]
	v_add_f64 v[9:10], v[32:33], -v[56:57]
	v_add_f64 v[34:35], v[1:2], v[13:14]
	v_fma_f64 v[50:51], v[52:53], v[72:73], v[15:16]
	v_add_f64 v[11:12], v[58:59], -v[36:37]
	v_add_f64 v[21:22], v[23:24], v[17:18]
	v_add_f64 v[15:16], v[3:4], -v[19:20]
	v_add_f64 v[36:37], v[58:59], v[36:37]
	v_add_f64 v[52:53], v[5:6], v[7:8]
	;; [unrolled: 1-line block ×3, first 2 shown]
	v_add_f64 v[17:18], v[17:18], -v[23:24]
	v_add_f64 v[1:2], v[1:2], -v[13:14]
	;; [unrolled: 1-line block ×3, first 2 shown]
	v_add_f64 v[32:33], v[56:57], v[32:33]
	v_add_f64 v[7:8], v[9:10], v[11:12]
	v_add_f64 v[13:14], v[9:10], -v[11:12]
	v_add_f64 v[54:55], v[34:35], v[52:53]
	v_add_f64 v[19:20], v[21:22], -v[34:35]
	v_add_f64 v[23:24], v[52:53], -v[21:22]
	v_add_f64 v[60:61], v[36:37], v[3:4]
	v_add_f64 v[62:63], v[17:18], v[1:2]
	v_add_f64 v[64:65], v[17:18], -v[1:2]
	v_add_f64 v[66:67], v[11:12], -v[15:16]
	;; [unrolled: 1-line block ×4, first 2 shown]
	v_add_f64 v[1:2], v[21:22], v[54:55]
	v_add_f64 v[56:57], v[32:33], -v[36:37]
	v_add_f64 v[58:59], v[3:4], -v[32:33]
	;; [unrolled: 1-line block ×3, first 2 shown]
	v_add_f64 v[54:55], v[7:8], v[15:16]
	v_mul_f64 v[70:71], v[13:14], s[20:21]
	v_mul_f64 v[3:4], v[19:20], s[12:13]
	;; [unrolled: 1-line block ×3, first 2 shown]
	v_add_f64 v[21:22], v[32:33], v[60:61]
	s_waitcnt lgkmcnt(0)
	v_add_f64 v[13:14], v[46:47], v[1:2]
	v_add_f64 v[9:10], v[15:16], -v[9:10]
	v_add_f64 v[17:18], v[5:6], -v[17:18]
	v_add_f64 v[60:61], v[62:63], v[5:6]
	v_mul_f64 v[5:6], v[66:67], s[14:15]
	v_mul_f64 v[46:47], v[64:65], s[20:21]
	;; [unrolled: 1-line block ×3, first 2 shown]
	v_fma_f64 v[34:35], v[19:20], s[12:13], v[7:8]
	v_add_f64 v[15:16], v[44:45], v[21:22]
	v_fma_f64 v[1:2], v[1:2], s[22:23], v[13:14]
	v_fma_f64 v[7:8], v[11:12], s[16:17], -v[7:8]
	v_fma_f64 v[3:4], v[11:12], s[0:1], -v[3:4]
	v_add_u32_e32 v26, v28, v27
	v_lshrrev_b32_e32 v28, 8, v26
	v_mul_f64 v[58:59], v[58:59], s[18:19]
	v_fma_f64 v[32:33], v[9:10], s[24:25], v[70:71]
	v_fma_f64 v[64:65], v[9:10], s[26:27], -v[5:6]
	v_lshrrev_b32_e32 v9, 2, v26
	v_and_b32_e32 v30, 63, v26
	v_and_b32_e32 v28, 0x3f0, v28
	;; [unrolled: 1-line block ×3, first 2 shown]
	v_add_u32_e32 v28, s28, v28
	v_lshl_add_u32 v5, v30, 4, 0
	v_add_u32_e32 v9, s28, v9
	v_fma_f64 v[44:45], v[17:18], s[24:25], v[46:47]
	v_fma_f64 v[17:18], v[17:18], s[26:27], -v[23:24]
	v_fma_f64 v[72:73], v[21:22], s[22:23], v[15:16]
	v_add_f64 v[21:22], v[34:35], v[1:2]
	v_add_f64 v[23:24], v[7:8], v[1:2]
	;; [unrolled: 1-line block ×3, first 2 shown]
	ds_read_b128 v[1:4], v28 offset:2048
	ds_read_b128 v[5:8], v5 offset:21952
	;; [unrolled: 1-line block ×3, first 2 shown]
	v_add_u32_e32 v26, v26, v27
	v_lshrrev_b32_e32 v28, 8, v26
	v_and_b32_e32 v28, 0x3f0, v28
	v_add_u32_e32 v28, s28, v28
	v_fma_f64 v[62:63], v[56:57], s[12:13], v[58:59]
	v_fma_f64 v[19:20], v[54:55], s[6:7], v[32:33]
	ds_read_b128 v[32:35], v28 offset:2048
	s_waitcnt lgkmcnt(1)
	v_mul_f64 v[76:77], v[7:8], v[11:12]
	v_mul_f64 v[56:57], v[56:57], s[12:13]
	;; [unrolled: 1-line block ×3, first 2 shown]
	v_fma_f64 v[66:67], v[66:67], s[14:15], -v[70:71]
	v_fma_f64 v[78:79], v[60:61], s[6:7], v[44:45]
	v_fma_f64 v[44:45], v[36:37], s[16:17], -v[58:59]
	v_fma_f64 v[46:47], v[52:53], s[14:15], -v[46:47]
	v_add_f64 v[62:63], v[62:63], v[72:73]
	v_fma_f64 v[58:59], v[5:6], v[9:10], -v[76:77]
	v_lshrrev_b32_e32 v6, 2, v26
	v_fma_f64 v[36:37], v[36:37], s[0:1], -v[56:57]
	v_and_b32_e32 v5, 63, v26
	v_and_b32_e32 v6, 0x3f0, v6
	v_fma_f64 v[76:77], v[7:8], v[9:10], v[11:12]
	v_lshl_add_u32 v5, v5, 4, 0
	v_add_u32_e32 v9, s28, v6
	ds_read_b128 v[5:8], v5 offset:21952
	ds_read_b128 v[9:12], v9 offset:1024
	v_fma_f64 v[64:65], v[54:55], s[6:7], v[64:65]
	v_fma_f64 v[56:57], v[54:55], s[6:7], v[66:67]
	v_add_f64 v[66:67], v[44:45], v[72:73]
	v_fma_f64 v[80:81], v[60:61], s[6:7], v[17:18]
	s_waitcnt lgkmcnt(0)
	v_mul_f64 v[54:55], v[7:8], v[11:12]
	v_mul_f64 v[11:12], v[5:6], v[11:12]
	v_fma_f64 v[60:61], v[60:61], s[6:7], v[46:47]
	v_mul_f64 v[17:18], v[68:69], v[42:43]
	v_add_f64 v[72:73], v[36:37], v[72:73]
	v_mul_f64 v[36:37], v[58:59], v[3:4]
	v_add_f64 v[70:71], v[19:20], v[21:22]
	v_add_f64 v[52:53], v[62:63], -v[78:79]
	v_fma_f64 v[44:45], v[5:6], v[9:10], -v[54:55]
	v_fma_f64 v[46:47], v[7:8], v[9:10], v[11:12]
	v_mul_f64 v[5:6], v[48:49], v[42:43]
	v_add_f64 v[7:8], v[64:65], v[23:24]
	v_add_f64 v[9:10], v[66:67], -v[80:81]
	v_fma_f64 v[11:12], v[40:41], v[48:49], v[17:18]
	v_mul_f64 v[3:4], v[76:77], v[3:4]
	v_add_f64 v[17:18], v[60:61], v[72:73]
	v_fma_f64 v[36:37], v[1:2], v[76:77], v[36:37]
	v_add_f64 v[42:43], v[74:75], -v[56:57]
	v_fma_f64 v[5:6], v[40:41], v[68:69], -v[5:6]
	v_mul_f64 v[40:41], v[52:53], v[50:51]
	v_mul_f64 v[48:49], v[70:71], v[50:51]
	;; [unrolled: 1-line block ×4, first 2 shown]
	v_fma_f64 v[54:55], v[1:2], v[58:59], -v[3:4]
	v_mul_f64 v[58:59], v[17:18], v[36:37]
	v_mul_f64 v[36:37], v[42:43], v[36:37]
	;; [unrolled: 1-line block ×4, first 2 shown]
	v_add_u32_e32 v26, v26, v27
	v_and_b32_e32 v30, 63, v26
	v_lshl_add_u32 v30, v30, 4, 0
	v_fma_f64 v[7:8], v[7:8], v[5:6], -v[50:51]
	v_fma_f64 v[5:6], v[9:10], v[5:6], v[11:12]
	v_fma_f64 v[11:12], v[42:43], v[54:55], -v[58:59]
	v_fma_f64 v[9:10], v[17:18], v[54:55], v[36:37]
	;; [unrolled: 2-line block ×3, first 2 shown]
	ds_read_b128 v[32:35], v30 offset:21952
	v_lshrrev_b32_e32 v30, 2, v26
	v_and_b32_e32 v30, 0x3f0, v30
	v_lshrrev_b32_e32 v28, 8, v26
	v_add_u32_e32 v30, s28, v30
	v_add_u32_e32 v26, v26, v27
	v_fma_f64 v[3:4], v[70:71], v[38:39], -v[40:41]
	v_fma_f64 v[1:2], v[52:53], v[38:39], v[48:49]
	ds_read_b128 v[36:39], v30 offset:1024
	v_lshrrev_b32_e32 v27, 8, v26
	v_and_b32_e32 v30, 63, v26
	v_lshrrev_b32_e32 v26, 2, v26
	v_and_b32_e32 v27, 0x3f0, v27
	v_lshl_add_u32 v30, v30, 4, 0
	v_and_b32_e32 v26, 0x3f0, v26
	v_add_u32_e32 v27, s28, v27
	v_add_u32_e32 v26, s28, v26
	ds_read_b128 v[40:43], v30 offset:21952
	ds_read_b128 v[44:47], v26 offset:1024
	;; [unrolled: 1-line block ×3, first 2 shown]
	s_waitcnt lgkmcnt(3)
	v_mul_f64 v[26:27], v[34:35], v[38:39]
	v_mul_f64 v[38:39], v[32:33], v[38:39]
	v_mul_lo_u32 v30, v25, v29
	s_waitcnt lgkmcnt(1)
	v_mul_f64 v[68:69], v[42:43], v[46:47]
	v_add_f64 v[60:61], v[72:73], -v[60:61]
	v_and_b32_e32 v28, 0x3f0, v28
	v_add_u32_e32 v28, s28, v28
	ds_read_b128 v[52:55], v28 offset:2048
	v_fma_f64 v[70:71], v[32:33], v[36:37], -v[26:27]
	v_fma_f64 v[72:73], v[34:35], v[36:37], v[38:39]
	v_lshrrev_b32_e32 v36, 8, v30
	v_fma_f64 v[68:69], v[40:41], v[44:45], -v[68:69]
	v_mul_f64 v[40:41], v[40:41], v[46:47]
	v_and_b32_e32 v26, 63, v30
	v_lshrrev_b32_e32 v30, 2, v30
	v_and_b32_e32 v30, 0x3f0, v30
	v_lshl_add_u32 v26, v26, 4, 0
	v_add_u32_e32 v30, s28, v30
	ds_read_b128 v[26:29], v26 offset:21952
	ds_read_b128 v[32:35], v30 offset:1024
	v_fma_f64 v[40:41], v[42:43], v[44:45], v[40:41]
	s_waitcnt lgkmcnt(2)
	v_mul_f64 v[46:47], v[70:71], v[54:55]
	v_add_f64 v[23:24], v[23:24], -v[64:65]
	v_mul_f64 v[64:65], v[68:69], v[50:51]
	s_waitcnt lgkmcnt(0)
	v_mul_f64 v[42:43], v[28:29], v[34:35]
	v_mul_f64 v[34:35], v[26:27], v[34:35]
	v_and_b32_e32 v30, 0x3f0, v36
	v_add_u32_e32 v30, s28, v30
	ds_read_b128 v[36:39], v30 offset:2048
	v_add_f64 v[66:67], v[80:81], v[66:67]
	v_fma_f64 v[46:47], v[52:53], v[72:73], v[46:47]
	v_mul_f64 v[50:51], v[40:41], v[50:51]
	v_fma_f64 v[42:43], v[26:27], v[32:33], -v[42:43]
	v_mul_f64 v[26:27], v[72:73], v[54:55]
	v_add_f64 v[54:55], v[78:79], v[62:63]
	v_fma_f64 v[40:41], v[48:49], v[40:41], v[64:65]
	v_add_f64 v[62:63], v[21:22], -v[19:20]
	v_fma_f64 v[19:20], v[28:29], v[32:33], v[34:35]
	v_mul_f64 v[28:29], v[66:67], v[46:47]
	v_mul_f64 v[32:33], v[23:24], v[46:47]
	s_waitcnt lgkmcnt(0)
	v_mul_f64 v[21:22], v[42:43], v[38:39]
	v_fma_f64 v[26:27], v[52:53], v[70:71], -v[26:27]
	v_fma_f64 v[34:35], v[48:49], v[68:69], -v[50:51]
	v_mul_f64 v[46:47], v[54:55], v[40:41]
	v_mul_f64 v[40:41], v[62:63], v[40:41]
	;; [unrolled: 1-line block ×3, first 2 shown]
	v_add_f64 v[56:57], v[56:57], v[74:75]
	v_mul_f64 v[44:45], v[60:61], v[58:59]
	v_fma_f64 v[48:49], v[36:37], v[19:20], v[21:22]
	v_fma_f64 v[23:24], v[23:24], v[26:27], -v[28:29]
	v_fma_f64 v[21:22], v[66:67], v[26:27], v[32:33]
	v_fma_f64 v[28:29], v[62:63], v[34:35], -v[46:47]
	;; [unrolled: 2-line block ×3, first 2 shown]
	v_mad_u64_u32 v[38:39], s[0:1], s4, v31, 0
	s_movk_i32 s0, 0x14f
	v_mul_u32_u24_sdwa v0, v0, s0 dst_sel:DWORD dst_unused:UNUSED_PAD src0_sel:WORD_0 src1_sel:DWORD
	s_movk_i32 s0, 0x157
	v_mul_lo_u16_sdwa v0, v0, s0 dst_sel:DWORD dst_unused:UNUSED_PAD src0_sel:WORD_1 src1_sel:DWORD
	v_fma_f64 v[19:20], v[56:57], v[17:18], -v[44:45]
	v_mul_f64 v[32:33], v[15:16], v[48:49]
	v_add_u32_e32 v45, v0, v25
	v_mad_u64_u32 v[40:41], s[0:1], s8, v45, 0
	v_mul_f64 v[36:37], v[13:14], v[48:49]
	v_mov_b32_e32 v0, v39
	v_mad_u64_u32 v[42:43], s[0:1], s5, v31, v[0:1]
	v_mov_b32_e32 v0, v41
	v_mad_u64_u32 v[43:44], s[0:1], s9, v45, v[0:1]
	v_mov_b32_e32 v39, v42
	s_lshl_b64 s[0:1], s[2:3], 4
	v_fma_f64 v[32:33], v[13:14], v[34:35], -v[32:33]
	s_add_u32 s0, s10, s0
	v_lshlrev_b64 v[13:14], 4, v[38:39]
	s_addc_u32 s1, s11, s1
	v_add_u32_e32 v25, 49, v45
	v_fma_f64 v[30:31], v[15:16], v[34:35], v[36:37]
	v_mov_b32_e32 v0, s1
	v_add_co_u32_e32 v37, vcc, s0, v13
	v_mad_u64_u32 v[15:16], s[0:1], s8, v25, 0
	v_addc_co_u32_e32 v38, vcc, v0, v14, vcc
	v_mov_b32_e32 v0, v16
	v_mad_u64_u32 v[34:35], s[0:1], s9, v25, v[0:1]
	v_add_u32_e32 v25, 0x62, v45
	v_mov_b32_e32 v41, v43
	v_mad_u64_u32 v[35:36], s[0:1], s8, v25, 0
	v_lshlrev_b64 v[13:14], 4, v[40:41]
	v_mov_b32_e32 v16, v34
	v_add_co_u32_e32 v13, vcc, v37, v13
	v_addc_co_u32_e32 v14, vcc, v38, v14, vcc
	v_mov_b32_e32 v0, v36
	global_store_dwordx4 v[13:14], v[30:33], off
	v_lshlrev_b64 v[13:14], 4, v[15:16]
	v_mad_u64_u32 v[15:16], s[0:1], s9, v25, v[0:1]
	v_mul_f64 v[58:59], v[56:57], v[58:59]
	v_add_u32_e32 v25, 0x93, v45
	v_mov_b32_e32 v36, v15
	v_mad_u64_u32 v[15:16], s[0:1], s8, v25, 0
	v_add_co_u32_e32 v13, vcc, v37, v13
	v_addc_co_u32_e32 v14, vcc, v38, v14, vcc
	v_mov_b32_e32 v0, v16
	global_store_dwordx4 v[13:14], v[26:29], off
	v_fma_f64 v[17:18], v[60:61], v[17:18], v[58:59]
	v_mad_u64_u32 v[25:26], s[0:1], s9, v25, v[0:1]
	v_add_u32_e32 v28, 0xc4, v45
	v_lshlrev_b64 v[13:14], 4, v[35:36]
	v_mad_u64_u32 v[26:27], s[0:1], s8, v28, 0
	v_add_co_u32_e32 v13, vcc, v37, v13
	v_addc_co_u32_e32 v14, vcc, v38, v14, vcc
	v_mov_b32_e32 v16, v25
	global_store_dwordx4 v[13:14], v[21:24], off
	v_lshlrev_b64 v[13:14], 4, v[15:16]
	v_mov_b32_e32 v0, v27
	v_mad_u64_u32 v[15:16], s[0:1], s9, v28, v[0:1]
	v_add_co_u32_e32 v13, vcc, v37, v13
	v_addc_co_u32_e32 v14, vcc, v38, v14, vcc
	global_store_dwordx4 v[13:14], v[17:20], off
	v_mov_b32_e32 v27, v15
	v_add_u32_e32 v17, 0xf5, v45
	v_mad_u64_u32 v[15:16], s[0:1], s8, v17, 0
	v_add_u32_e32 v19, 0x126, v45
	v_lshlrev_b64 v[13:14], 4, v[26:27]
	v_mov_b32_e32 v0, v16
	v_mad_u64_u32 v[16:17], s[0:1], s9, v17, v[0:1]
	v_mad_u64_u32 v[17:18], s[0:1], s8, v19, 0
	v_add_co_u32_e32 v13, vcc, v37, v13
	v_addc_co_u32_e32 v14, vcc, v38, v14, vcc
	v_mov_b32_e32 v0, v18
	global_store_dwordx4 v[13:14], v[9:12], off
	s_nop 0
	v_mad_u64_u32 v[11:12], s[0:1], s9, v19, v[0:1]
	v_lshlrev_b64 v[9:10], 4, v[15:16]
	v_add_co_u32_e32 v9, vcc, v37, v9
	v_addc_co_u32_e32 v10, vcc, v38, v10, vcc
	v_mov_b32_e32 v18, v11
	global_store_dwordx4 v[9:10], v[5:8], off
	s_nop 0
	v_lshlrev_b64 v[5:6], 4, v[17:18]
	v_add_co_u32_e32 v5, vcc, v37, v5
	v_addc_co_u32_e32 v6, vcc, v38, v6, vcc
	global_store_dwordx4 v[5:6], v[1:4], off
.LBB0_8:
	s_endpgm
	.section	.rodata,"a",@progbits
	.p2align	6, 0x0
	.amdhsa_kernel fft_rtc_back_len343_factors_7_7_7_wgs_196_tpt_49_dim2_dp_ip_CI_sbcc_twdbase6_3step_dirReg
		.amdhsa_group_segment_fixed_size 0
		.amdhsa_private_segment_fixed_size 0
		.amdhsa_kernarg_size 88
		.amdhsa_user_sgpr_count 6
		.amdhsa_user_sgpr_private_segment_buffer 1
		.amdhsa_user_sgpr_dispatch_ptr 0
		.amdhsa_user_sgpr_queue_ptr 0
		.amdhsa_user_sgpr_kernarg_segment_ptr 1
		.amdhsa_user_sgpr_dispatch_id 0
		.amdhsa_user_sgpr_flat_scratch_init 0
		.amdhsa_user_sgpr_private_segment_size 0
		.amdhsa_uses_dynamic_stack 0
		.amdhsa_system_sgpr_private_segment_wavefront_offset 0
		.amdhsa_system_sgpr_workgroup_id_x 1
		.amdhsa_system_sgpr_workgroup_id_y 0
		.amdhsa_system_sgpr_workgroup_id_z 0
		.amdhsa_system_sgpr_workgroup_info 0
		.amdhsa_system_vgpr_workitem_id 0
		.amdhsa_next_free_vgpr 82
		.amdhsa_next_free_sgpr 36
		.amdhsa_reserve_vcc 1
		.amdhsa_reserve_flat_scratch 0
		.amdhsa_float_round_mode_32 0
		.amdhsa_float_round_mode_16_64 0
		.amdhsa_float_denorm_mode_32 3
		.amdhsa_float_denorm_mode_16_64 3
		.amdhsa_dx10_clamp 1
		.amdhsa_ieee_mode 1
		.amdhsa_fp16_overflow 0
		.amdhsa_exception_fp_ieee_invalid_op 0
		.amdhsa_exception_fp_denorm_src 0
		.amdhsa_exception_fp_ieee_div_zero 0
		.amdhsa_exception_fp_ieee_overflow 0
		.amdhsa_exception_fp_ieee_underflow 0
		.amdhsa_exception_fp_ieee_inexact 0
		.amdhsa_exception_int_div_zero 0
	.end_amdhsa_kernel
	.text
.Lfunc_end0:
	.size	fft_rtc_back_len343_factors_7_7_7_wgs_196_tpt_49_dim2_dp_ip_CI_sbcc_twdbase6_3step_dirReg, .Lfunc_end0-fft_rtc_back_len343_factors_7_7_7_wgs_196_tpt_49_dim2_dp_ip_CI_sbcc_twdbase6_3step_dirReg
                                        ; -- End function
	.section	.AMDGPU.csdata,"",@progbits
; Kernel info:
; codeLenInByte = 5528
; NumSgprs: 40
; NumVgprs: 82
; ScratchSize: 0
; MemoryBound: 1
; FloatMode: 240
; IeeeMode: 1
; LDSByteSize: 0 bytes/workgroup (compile time only)
; SGPRBlocks: 4
; VGPRBlocks: 20
; NumSGPRsForWavesPerEU: 40
; NumVGPRsForWavesPerEU: 82
; Occupancy: 3
; WaveLimiterHint : 1
; COMPUTE_PGM_RSRC2:SCRATCH_EN: 0
; COMPUTE_PGM_RSRC2:USER_SGPR: 6
; COMPUTE_PGM_RSRC2:TRAP_HANDLER: 0
; COMPUTE_PGM_RSRC2:TGID_X_EN: 1
; COMPUTE_PGM_RSRC2:TGID_Y_EN: 0
; COMPUTE_PGM_RSRC2:TGID_Z_EN: 0
; COMPUTE_PGM_RSRC2:TIDIG_COMP_CNT: 0
	.type	__hip_cuid_52d1ca56732d1cf4,@object ; @__hip_cuid_52d1ca56732d1cf4
	.section	.bss,"aw",@nobits
	.globl	__hip_cuid_52d1ca56732d1cf4
__hip_cuid_52d1ca56732d1cf4:
	.byte	0                               ; 0x0
	.size	__hip_cuid_52d1ca56732d1cf4, 1

	.ident	"AMD clang version 19.0.0git (https://github.com/RadeonOpenCompute/llvm-project roc-6.4.0 25133 c7fe45cf4b819c5991fe208aaa96edf142730f1d)"
	.section	".note.GNU-stack","",@progbits
	.addrsig
	.addrsig_sym __hip_cuid_52d1ca56732d1cf4
	.amdgpu_metadata
---
amdhsa.kernels:
  - .args:
      - .actual_access:  read_only
        .address_space:  global
        .offset:         0
        .size:           8
        .value_kind:     global_buffer
      - .address_space:  global
        .offset:         8
        .size:           8
        .value_kind:     global_buffer
      - .actual_access:  read_only
        .address_space:  global
        .offset:         16
        .size:           8
        .value_kind:     global_buffer
      - .actual_access:  read_only
        .address_space:  global
        .offset:         24
        .size:           8
        .value_kind:     global_buffer
      - .offset:         32
        .size:           8
        .value_kind:     by_value
      - .actual_access:  read_only
        .address_space:  global
        .offset:         40
        .size:           8
        .value_kind:     global_buffer
      - .actual_access:  read_only
        .address_space:  global
        .offset:         48
        .size:           8
        .value_kind:     global_buffer
      - .offset:         56
        .size:           4
        .value_kind:     by_value
      - .actual_access:  read_only
        .address_space:  global
        .offset:         64
        .size:           8
        .value_kind:     global_buffer
      - .actual_access:  read_only
        .address_space:  global
        .offset:         72
        .size:           8
        .value_kind:     global_buffer
      - .address_space:  global
        .offset:         80
        .size:           8
        .value_kind:     global_buffer
    .group_segment_fixed_size: 0
    .kernarg_segment_align: 8
    .kernarg_segment_size: 88
    .language:       OpenCL C
    .language_version:
      - 2
      - 0
    .max_flat_workgroup_size: 196
    .name:           fft_rtc_back_len343_factors_7_7_7_wgs_196_tpt_49_dim2_dp_ip_CI_sbcc_twdbase6_3step_dirReg
    .private_segment_fixed_size: 0
    .sgpr_count:     40
    .sgpr_spill_count: 0
    .symbol:         fft_rtc_back_len343_factors_7_7_7_wgs_196_tpt_49_dim2_dp_ip_CI_sbcc_twdbase6_3step_dirReg.kd
    .uniform_work_group_size: 1
    .uses_dynamic_stack: false
    .vgpr_count:     82
    .vgpr_spill_count: 0
    .wavefront_size: 64
amdhsa.target:   amdgcn-amd-amdhsa--gfx906
amdhsa.version:
  - 1
  - 2
...

	.end_amdgpu_metadata
